;; amdgpu-corpus repo=ROCm/rocm-libraries kind=compiled arch=gfx1201 opt=O3
	.amdgcn_target "amdgcn-amd-amdhsa--gfx1201"
	.amdhsa_code_object_version 6
	.text
	.protected	miopen_conv3d_depthwise_fwd ; -- Begin function miopen_conv3d_depthwise_fwd
	.globl	miopen_conv3d_depthwise_fwd
	.p2align	8
	.type	miopen_conv3d_depthwise_fwd,@function
miopen_conv3d_depthwise_fwd:            ; @miopen_conv3d_depthwise_fwd
; %bb.0:
	s_load_b256 s[4:11], s[0:1], 0x20
	v_lshlrev_b32_e32 v36, 1, v0
	s_mov_b32 s21, 0
	s_wait_kmcnt 0x0
	s_abs_i32 s2, s4
	s_abs_i32 s13, s8
	s_cvt_f32_u32 s3, s2
	s_sub_co_i32 s12, 0, s2
	s_delay_alu instid0(SALU_CYCLE_2) | instskip(NEXT) | instid1(TRANS32_DEP_1)
	v_rcp_iflag_f32_e32 v1, s3
	v_readfirstlane_b32 s3, v1
	s_mul_f32 s3, s3, 0x4f7ffffe
	s_wait_alu 0xfffe
	s_delay_alu instid0(SALU_CYCLE_2) | instskip(SKIP_1) | instid1(SALU_CYCLE_2)
	s_cvt_u32_f32 s3, s3
	s_wait_alu 0xfffe
	s_mul_i32 s12, s12, s3
	s_delay_alu instid0(SALU_CYCLE_1) | instskip(NEXT) | instid1(SALU_CYCLE_1)
	s_mul_hi_u32 s12, s3, s12
	s_add_co_i32 s3, s3, s12
	s_xor_b32 s12, s8, s4
	s_wait_alu 0xfffe
	s_mul_hi_u32 s3, s13, s3
	s_ashr_i32 s12, s12, 31
	s_wait_alu 0xfffe
	s_mul_i32 s14, s3, s2
	s_delay_alu instid0(SALU_CYCLE_1)
	s_sub_co_i32 s13, s13, s14
	s_add_co_i32 s14, s3, 1
	s_sub_co_i32 s15, s13, s2
	s_cmp_ge_u32 s13, s2
	s_cselect_b32 s3, s14, s3
	s_cselect_b32 s13, s15, s13
	s_wait_alu 0xfffe
	s_add_co_i32 s14, s3, 1
	s_cmp_ge_u32 s13, s2
	s_cselect_b32 s2, s14, s3
	s_and_b32 s24, ttmp7, 0xffff
	s_wait_alu 0xfffe
	s_xor_b32 s2, s2, s12
	s_abs_i32 s20, s24
	s_wait_alu 0xfffe
	s_sub_co_i32 s26, s2, s12
	s_delay_alu instid0(SALU_CYCLE_1) | instskip(NEXT) | instid1(SALU_CYCLE_1)
	s_abs_i32 s25, s26
	s_cvt_f32_u32 s2, s25
	s_sub_co_i32 s12, 0, s25
	s_wait_alu 0xfffe
	s_delay_alu instid0(SALU_CYCLE_1) | instskip(SKIP_1) | instid1(TRANS32_DEP_1)
	v_rcp_iflag_f32_e32 v1, s2
	s_load_b32 s2, s[0:1], 0x4c
	v_readfirstlane_b32 s3, v1
	s_mul_f32 s3, s3, 0x4f7ffffe
	s_wait_alu 0xfffe
	s_delay_alu instid0(SALU_CYCLE_2) | instskip(SKIP_1) | instid1(SALU_CYCLE_2)
	s_cvt_u32_f32 s3, s3
	s_wait_alu 0xfffe
	s_mul_i32 s12, s12, s3
	s_delay_alu instid0(SALU_CYCLE_1)
	s_mul_hi_u32 s13, s3, s12
	s_wait_kmcnt 0x0
	s_and_b32 s12, s2, 0xffff
	s_add_co_i32 s2, s3, s13
	s_cmp_lg_u32 s12, 1
	s_cbranch_scc1 .LBB0_7
; %bb.1:
	v_sub_nc_u32_e32 v1, 0x303a, v0
	s_mov_b32 s16, s21
	s_mov_b32 s17, s21
	;; [unrolled: 1-line block ×4, first 2 shown]
	v_lshrrev_b32_e32 v1, 1, v1
	v_lshlrev_b32_e32 v5, 1, v0
	s_mov_b32 s3, s21
	s_delay_alu instid0(VALU_DEP_2) | instskip(SKIP_1) | instid1(VALU_DEP_2)
	v_dual_mov_b32 v1, s16 :: v_dual_add_nc_u32 v6, 1, v1
	v_dual_mov_b32 v2, s17 :: v_dual_mov_b32 v3, s18
	v_dual_mov_b32 v4, s19 :: v_dual_and_b32 v7, 0x3ff8, v6
.LBB0_2:                                ; =>This Inner Loop Header: Depth=1
	s_delay_alu instid0(VALU_DEP_1)
	v_add_nc_u32_e32 v7, -8, v7
	ds_store_b128 v5, v[1:4]
	ds_store_b128 v5, v[1:4] offset:16
	v_add_nc_u32_e32 v5, 32, v5
	v_cmp_eq_u32_e32 vcc_lo, 0, v7
	s_wait_alu 0xfffe
	s_or_b32 s3, vcc_lo, s3
	s_wait_alu 0xfffe
	s_and_not1_b32 exec_lo, exec_lo, s3
	s_cbranch_execnz .LBB0_2
; %bb.3:
	s_or_b32 exec_lo, exec_lo, s3
	v_and_b32_e32 v1, 7, v6
	s_mov_b32 s13, 0
	s_mov_b32 s3, exec_lo
	s_delay_alu instid0(VALU_DEP_1)
	v_cmpx_ne_u32_e32 0, v1
	s_cbranch_execz .LBB0_6
; %bb.4:
	v_sub_nc_u32_e32 v1, 0, v1
	v_mov_b32_e32 v2, 0
.LBB0_5:                                ; =>This Inner Loop Header: Depth=1
	ds_store_b32 v5, v2
	v_add_nc_u32_e32 v5, 4, v5
	v_add_co_u32 v1, s14, v1, 1
	s_or_b32 s13, s14, s13
	s_delay_alu instid0(SALU_CYCLE_1)
	s_and_not1_b32 exec_lo, exec_lo, s13
	s_cbranch_execnz .LBB0_5
.LBB0_6:
	s_wait_alu 0xfffe
	s_or_b32 exec_lo, exec_lo, s3
	v_sub_nc_u32_e32 v2, 0x303c, v0
	s_delay_alu instid0(VALU_DEP_1) | instskip(NEXT) | instid1(VALU_DEP_1)
	v_and_b32_e32 v3, 0x3ffe, v2
	v_add_nc_u32_e32 v1, v0, v3
	v_cmp_ne_u32_e64 s14, v2, v3
	s_load_b128 s[16:19], s[0:1], 0x10
	s_mov_b32 s3, s21
	s_and_saveexec_b32 s13, s14
	s_cbranch_execnz .LBB0_8
	s_branch .LBB0_10
.LBB0_7:
	v_mov_b32_e32 v1, v0
	s_mov_b32 s14, -1
	s_load_b128 s[16:19], s[0:1], 0x10
	s_mov_b32 s3, s21
	s_and_saveexec_b32 s13, s14
	s_cbranch_execz .LBB0_10
.LBB0_8:
	v_dual_mov_b32 v3, 0 :: v_dual_lshlrev_b32 v2, 1, v1
	s_lshl_b32 s14, s12, 1
	s_mov_b32 s15, 0
.LBB0_9:                                ; =>This Inner Loop Header: Depth=1
	v_add_nc_u32_e32 v1, s12, v1
	ds_store_b16 v2, v3
	v_add_nc_u32_e32 v2, s14, v2
	v_cmp_lt_u32_e32 vcc_lo, 0x303b, v1
	s_or_b32 s15, vcc_lo, s15
	s_wait_alu 0xfffe
	s_and_not1_b32 exec_lo, exec_lo, s15
	s_cbranch_execnz .LBB0_9
.LBB0_10:
	s_or_b32 exec_lo, exec_lo, s13
	s_load_b128 s[12:15], s[0:1], 0x0
	s_mul_u64 s[22:23], s[20:21], s[2:3]
	s_add_nc_u64 s[2:3], s[0:1], 64
	v_readfirstlane_b32 s0, v0
	s_ashr_i32 s22, s26, 31
	s_lshr_b32 s21, ttmp7, 16
	s_wait_dscnt 0x0
	s_barrier_signal -1
	s_cmp_lt_u32 s0, 0xb40
	s_barrier_wait -1
	global_inv scope:SCOPE_SE
	s_cbranch_scc0 .LBB0_23
; %bb.11:
	s_mul_i32 s1, s23, s25
	s_add_co_i32 s26, s23, 1
	s_sub_co_i32 s1, s20, s1
	s_mul_i32 s4, s4, ttmp9
	s_sub_co_i32 s20, s1, s25
	s_cmp_ge_u32 s1, s25
	v_and_b32_e32 v0, 63, v0
	s_cselect_b32 s23, s26, s23
	s_cselect_b32 s1, s20, s1
	s_add_co_i32 s20, s23, 1
	s_cmp_ge_u32 s1, s25
	s_mul_i32 s1, s7, s6
	s_cselect_b32 s20, s20, s23
	v_lshlrev_b32_e32 v1, 2, v0
	s_xor_b32 s20, s20, s22
	v_cmp_gt_u32_e32 vcc_lo, 40, v0
	s_sub_co_i32 s22, s20, s22
	s_lshr_b32 s20, s0, 6
	s_add_co_i32 s0, s22, s4
	s_mul_i32 s23, s7, s20
	s_mul_i32 s0, s0, s5
	v_lshl_add_u32 v2, s23, 1, v1
	s_add_co_i32 s0, s0, s21
	s_add_co_i32 s5, s20, -4
	s_mul_i32 s0, s1, s0
	s_mul_i32 s22, s20, 0xa8
	s_ashr_i32 s1, s0, 31
	s_lshl_b32 s4, s7, 3
	s_lshl_b64 s[0:1], s[0:1], 1
	s_wait_alu 0xfffe
	s_add_co_i32 s23, s22, 0x154
	s_wait_kmcnt 0x0
	s_add_nc_u64 s[0:1], s[12:13], s[0:1]
	s_mov_b32 s12, s5
	s_branch .LBB0_13
.LBB0_12:                               ;   in Loop: Header=BB0_13 Depth=1
	s_wait_alu 0xfffe
	s_or_b32 exec_lo, exec_lo, s13
	v_add_nc_u32_e32 v2, s4, v2
	s_add_co_i32 s12, s12, 4
	s_addk_co_i32 s23, 0x2a0
	s_wait_alu 0xfffe
	s_cmp_gt_u32 s12, 40
	s_cbranch_scc1 .LBB0_15
.LBB0_13:                               ; =>This Inner Loop Header: Depth=1
	s_and_saveexec_b32 s13, vcc_lo
	s_cbranch_execz .LBB0_12
; %bb.14:                               ;   in Loop: Header=BB0_13 Depth=1
	v_readfirstlane_b32 s25, v0
	s_lshl_b32 s25, s25, 2
	s_wait_alu 0xfffe
	s_add_co_i32 s25, s23, s25
	;;#ASMSTART
	s_mov_b32 m0, s25
	s_nop 1

	;;#ASMEND
	;;#ASMSTART
	global_load_lds_dword v2, s[0:1] offset:0
	;;#ASMEND
	s_branch .LBB0_12
.LBB0_15:
	s_add_co_i32 s12, s6, s20
	s_mov_b32 s13, s5
	s_wait_alu 0xfffe
	s_mul_i32 s12, s7, s12
	s_wait_alu 0xfffe
	v_lshl_add_u32 v2, s12, 1, v1
	s_add_co_i32 s12, s22, 0x217c
	s_branch .LBB0_17
.LBB0_16:                               ;   in Loop: Header=BB0_17 Depth=1
	s_wait_alu 0xfffe
	s_or_b32 exec_lo, exec_lo, s23
	v_add_nc_u32_e32 v2, s4, v2
	s_add_co_i32 s13, s13, 4
	s_addk_co_i32 s12, 0x2a0
	s_wait_alu 0xfffe
	s_cmp_lt_u32 s13, 41
	s_cbranch_scc0 .LBB0_19
.LBB0_17:                               ; =>This Inner Loop Header: Depth=1
	s_and_saveexec_b32 s23, vcc_lo
	s_cbranch_execz .LBB0_16
; %bb.18:                               ;   in Loop: Header=BB0_17 Depth=1
	v_readfirstlane_b32 s25, v0
	s_lshl_b32 s25, s25, 2
	s_wait_alu 0xfffe
	s_add_co_i32 s25, s12, s25
	;;#ASMSTART
	s_mov_b32 m0, s25
	s_nop 1

	;;#ASMEND
	;;#ASMSTART
	global_load_lds_dword v2, s[0:1] offset:0
	;;#ASMEND
	s_branch .LBB0_16
.LBB0_19:
	s_lshl_b32 s6, s6, 1
	s_delay_alu instid0(SALU_CYCLE_1) | instskip(NEXT) | instid1(SALU_CYCLE_1)
	s_add_co_i32 s20, s20, s6
	s_mul_i32 s6, s7, s20
	s_delay_alu instid0(SALU_CYCLE_1)
	v_lshl_add_u32 v1, s6, 1, v1
	s_add_co_i32 s6, s22, 0x41a4
	s_branch .LBB0_21
.LBB0_20:                               ;   in Loop: Header=BB0_21 Depth=1
	s_wait_alu 0xfffe
	s_or_b32 exec_lo, exec_lo, s7
	v_add_nc_u32_e32 v1, s4, v1
	s_add_co_i32 s5, s5, 4
	s_addk_co_i32 s6, 0x2a0
	s_wait_alu 0xfffe
	s_cmp_lt_u32 s5, 41
	s_cbranch_scc0 .LBB0_23
.LBB0_21:                               ; =>This Inner Loop Header: Depth=1
	s_and_saveexec_b32 s7, vcc_lo
	s_cbranch_execz .LBB0_20
; %bb.22:                               ;   in Loop: Header=BB0_21 Depth=1
	v_readfirstlane_b32 s12, v0
	s_lshl_b32 s12, s12, 2
	s_wait_alu 0xfffe
	s_add_co_i32 s12, s6, s12
	;;#ASMSTART
	s_mov_b32 m0, s12
	s_nop 1

	;;#ASMEND
	;;#ASMSTART
	global_load_lds_dword v1, s[0:1] offset:0
	;;#ASMEND
	s_branch .LBB0_20
.LBB0_23:
	s_mul_i32 s0, s24, 0x96
	s_mov_b32 s1, 0
	v_mov_b32_e32 v37, s0
	s_wait_kmcnt 0x0
	s_cmp_lg_u64 s[18:19], 0
	s_mov_b32 s0, 0
	s_clause 0xa
	global_load_b128 v[32:35], v37, s[16:17]
	global_load_b128 v[28:31], v37, s[16:17] offset:16
	global_load_b128 v[24:27], v37, s[16:17] offset:32
	;; [unrolled: 1-line block ×8, first 2 shown]
	global_load_b32 v74, v37, s[16:17] offset:144
	global_load_u16 v75, v37, s[16:17] offset:148
	s_cbranch_scc0 .LBB0_25
; %bb.24:
	s_lshl_b32 s0, s24, 1
	s_load_u16 s0, s[18:19], s0 offset:0x0
	s_wait_kmcnt 0x0
	s_lshl_b32 s0, s0, 16
.LBB0_25:
	s_wait_alu 0xfffe
	s_mul_i32 s4, s8, ttmp9
	s_mul_i32 s5, s11, s10
	s_wait_alu 0xfffe
	s_add_co_i32 s4, s4, s24
	s_wait_loadcnt 0xa
	v_dual_mov_b32 v76, s0 :: v_dual_lshlrev_b32 v37, 16, v32
	s_wait_alu 0xfffe
	s_mul_i32 s4, s4, s9
	v_and_b32_e32 v32, 0xffff0000, v32
	s_wait_alu 0xfffe
	s_add_co_i32 s4, s4, s21
	v_lshlrev_b32_e32 v38, 16, v33
	s_wait_alu 0xfffe
	s_mul_i32 s4, s5, s4
	v_and_b32_e32 v33, 0xffff0000, v33
	s_wait_alu 0xfffe
	s_ashr_i32 s5, s4, 31
	v_lshlrev_b32_e32 v39, 16, v34
	v_and_b32_e32 v34, 0xffff0000, v34
	v_lshlrev_b32_e32 v40, 16, v35
	v_and_b32_e32 v35, 0xffff0000, v35
	s_wait_loadcnt 0x9
	v_lshlrev_b32_e32 v41, 16, v28
	v_and_b32_e32 v28, 0xffff0000, v28
	v_lshlrev_b32_e32 v42, 16, v29
	v_and_b32_e32 v29, 0xffff0000, v29
	v_lshlrev_b32_e32 v43, 16, v30
	v_and_b32_e32 v30, 0xffff0000, v30
	v_lshlrev_b32_e32 v44, 16, v31
	v_and_b32_e32 v31, 0xffff0000, v31
	s_wait_loadcnt 0x8
	v_lshlrev_b32_e32 v45, 16, v24
	v_and_b32_e32 v24, 0xffff0000, v24
	v_lshlrev_b32_e32 v46, 16, v25
	v_and_b32_e32 v25, 0xffff0000, v25
	;; [unrolled: 9-line block ×8, first 2 shown]
	v_lshlrev_b32_e32 v71, 16, v2
	v_and_b32_e32 v2, 0xffff0000, v2
	v_lshlrev_b32_e32 v72, 16, v3
	v_and_b32_e32 v3, 0xffff0000, v3
	s_wait_loadcnt 0x1
	v_lshlrev_b32_e32 v73, 16, v74
	v_and_b32_e32 v74, 0xffff0000, v74
	s_wait_loadcnt 0x0
	v_lshlrev_b32_e32 v75, 16, v75
	s_wait_alu 0xfffe
	s_lshl_b64 s[4:5], s[4:5], 1
	;;#ASMSTART
	s_waitcnt vmcnt(0)

	;;#ASMEND
	s_wait_alu 0xfffe
	s_add_nc_u64 s[4:5], s[14:15], s[4:5]
	s_barrier_signal -1
	s_barrier_wait -1
	global_inv scope:SCOPE_SE
.LBB0_26:                               ; =>This Inner Loop Header: Depth=1
	v_and_b32_e32 v77, 0xffff, v36
	s_delay_alu instid0(VALU_DEP_1) | instskip(NEXT) | instid1(VALU_DEP_1)
	v_mul_u32_u24_e32 v77, 0xcccd, v77
	v_lshrrev_b32_e32 v83, 22, v77
	s_delay_alu instid0(VALU_DEP_1) | instskip(NEXT) | instid1(VALU_DEP_1)
	v_mul_lo_u16 v77, 0x50, v83
	v_sub_nc_u16 v77, v36, v77
	s_delay_alu instid0(VALU_DEP_1) | instskip(NEXT) | instid1(VALU_DEP_1)
	v_and_b32_e32 v82, 0xffff, v77
	v_lshlrev_b32_e32 v77, 1, v82
	s_delay_alu instid0(VALU_DEP_1)
	v_mad_u32_u24 v77, 0xa8, v83, v77
	;;#ASMSTART
	ds_read_b32 v84, v77 offset:0
	;;#ASMEND
	;;#ASMSTART
	ds_read_b32 v85, v77 offset:4
	;;#ASMEND
	;;#ASMSTART
	ds_read_b32 v86, v77 offset:8
	;;#ASMEND
	;;#ASMSTART
	ds_read_b32 v87, v77 offset:0xa8
	;;#ASMEND
	;;#ASMSTART
	ds_read_b32 v88, v77 offset:0xac
	;;#ASMEND
	;;#ASMSTART
	ds_read_b32 v89, v77 offset:0xb0
	;;#ASMEND
	;;#ASMSTART
	ds_read_b32 v90, v77 offset:0x150
	;;#ASMEND
	;;#ASMSTART
	ds_read_b32 v91, v77 offset:0x154
	;;#ASMEND
	;;#ASMSTART
	ds_read_b32 v92, v77 offset:0x158
	;;#ASMEND
	;;#ASMSTART
	ds_read_b32 v93, v77 offset:0x1f8
	;;#ASMEND
	;;#ASMSTART
	ds_read_b32 v94, v77 offset:0x1fc
	;;#ASMEND
	;;#ASMSTART
	ds_read_b32 v95, v77 offset:0x200
	;;#ASMEND
	;;#ASMSTART
	ds_read_b32 v96, v77 offset:0x2a0
	;;#ASMEND
	;;#ASMSTART
	ds_read_b32 v97, v77 offset:0x2a4
	;;#ASMEND
	;;#ASMSTART
	ds_read_b32 v98, v77 offset:0x2a8
	;;#ASMEND
	;;#ASMSTART
	ds_read_b32 v99, v77 offset:0x2028
	;;#ASMEND
	;;#ASMSTART
	ds_read_b32 v100, v77 offset:0x202c
	;;#ASMEND
	;;#ASMSTART
	ds_read_b32 v101, v77 offset:0x2030
	;;#ASMEND
	;;#ASMSTART
	ds_read_b32 v102, v77 offset:0x20d0
	;;#ASMEND
	;;#ASMSTART
	ds_read_b32 v103, v77 offset:0x20d4
	;;#ASMEND
	;;#ASMSTART
	ds_read_b32 v104, v77 offset:0x20d8
	;;#ASMEND
	;;#ASMSTART
	ds_read_b32 v105, v77 offset:0x2178
	;;#ASMEND
	;;#ASMSTART
	ds_read_b32 v106, v77 offset:0x217c
	;;#ASMEND
	;;#ASMSTART
	ds_read_b32 v107, v77 offset:0x2180
	;;#ASMEND
	;;#ASMSTART
	ds_read_b32 v108, v77 offset:0x2220
	;;#ASMEND
	;;#ASMSTART
	ds_read_b32 v109, v77 offset:0x2224
	;;#ASMEND
	;;#ASMSTART
	ds_read_b32 v110, v77 offset:0x2228
	;;#ASMEND
	;;#ASMSTART
	ds_read_b32 v111, v77 offset:0x22c8
	;;#ASMEND
	;;#ASMSTART
	ds_read_b32 v112, v77 offset:0x22cc
	;;#ASMEND
	;;#ASMSTART
	ds_read_b32 v113, v77 offset:0x22d0
	;;#ASMEND
	;;#ASMSTART
	ds_read_b32 v114, v77 offset:0x4050
	;;#ASMEND
	;;#ASMSTART
	ds_read_b32 v115, v77 offset:0x4054
	;;#ASMEND
	;;#ASMSTART
	ds_read_b32 v81, v77 offset:0x4058
	;;#ASMEND
	;;#ASMSTART
	ds_read_b32 v116, v77 offset:0x40f8
	;;#ASMEND
	;;#ASMSTART
	ds_read_b32 v117, v77 offset:0x40fc
	;;#ASMEND
	;;#ASMSTART
	ds_read_b32 v80, v77 offset:0x4100
	;;#ASMEND
	;;#ASMSTART
	ds_read_b32 v118, v77 offset:0x41a0
	;;#ASMEND
	;;#ASMSTART
	ds_read_b32 v119, v77 offset:0x41a4
	;;#ASMEND
	;;#ASMSTART
	ds_read_b32 v79, v77 offset:0x41a8
	;;#ASMEND
	;;#ASMSTART
	ds_read_b32 v120, v77 offset:0x4248
	;;#ASMEND
	;;#ASMSTART
	ds_read_b32 v121, v77 offset:0x424c
	;;#ASMEND
	;;#ASMSTART
	ds_read_b32 v78, v77 offset:0x4250
	;;#ASMEND
	;;#ASMSTART
	ds_read_b32 v122, v77 offset:0x42f0
	;;#ASMEND
	;;#ASMSTART
	ds_read_b32 v123, v77 offset:0x42f4
	;;#ASMEND
	;;#ASMSTART
	ds_read_b32 v77, v77 offset:0x42f8
	;;#ASMEND
	;;#ASMSTART
	s_waitcnt lgkmcnt(0)

	;;#ASMEND
	; sched_barrier mask(0x00000000)
	v_mad_co_u64_u32 v[82:83], null, s11, v83, v[82:83]
	v_dual_mov_b32 v124, v76 :: v_dual_lshlrev_b32 v83, 16, v84
	;;#ASMSTART
	v_fmac_f32 v124, v37, v83
	;;#ASMEND
	v_and_b32_e32 v84, 0xffff0000, v84
	;;#ASMSTART
	v_fmac_f32 v124, v32, v84
	;;#ASMEND
	v_lshlrev_b32_e32 v125, 16, v85
	;;#ASMSTART
	v_fmac_f32 v124, v38, v125
	;;#ASMEND
	v_and_b32_e32 v85, 0xffff0000, v85
	;;#ASMSTART
	v_fmac_f32 v124, v33, v85
	;;#ASMEND
	v_lshlrev_b32_e32 v126, 16, v86
	;;#ASMSTART
	v_fmac_f32 v124, v39, v126
	;;#ASMEND
	v_lshlrev_b32_e32 v83, 16, v87
	;;#ASMSTART
	v_fmac_f32 v124, v34, v83
	;;#ASMEND
	v_and_b32_e32 v87, 0xffff0000, v87
	;;#ASMSTART
	v_fmac_f32 v124, v40, v87
	;;#ASMEND
	v_lshlrev_b32_e32 v127, 16, v88
	;;#ASMSTART
	v_fmac_f32 v124, v35, v127
	;;#ASMEND
	v_and_b32_e32 v88, 0xffff0000, v88
	;;#ASMSTART
	v_fmac_f32 v124, v41, v88
	;;#ASMEND
	v_lshlrev_b32_e32 v128, 16, v89
	;;#ASMSTART
	v_fmac_f32 v124, v28, v128
	;;#ASMEND
	v_lshlrev_b32_e32 v83, 16, v90
	;; [unrolled: 20-line block ×14, first 2 shown]
	;;#ASMSTART
	v_fmac_f32 v124, v72, v83
	;;#ASMEND
	v_and_b32_e32 v122, 0xffff0000, v122
	;;#ASMSTART
	v_fmac_f32 v124, v3, v122
	;;#ASMEND
	v_lshlrev_b32_e32 v153, 16, v123
	;;#ASMSTART
	v_fmac_f32 v124, v73, v153
	;;#ASMEND
	v_and_b32_e32 v123, 0xffff0000, v123
	;;#ASMSTART
	v_fmac_f32 v124, v74, v123
	;;#ASMEND
	v_ashrrev_i32_e32 v83, 31, v82
	v_lshlrev_b32_e32 v154, 16, v77
	;;#ASMSTART
	v_fmac_f32 v124, v75, v154
	;;#ASMEND
	v_bfe_u32 v155, v124, 16, 1
	v_or_b32_e32 v156, 0x400000, v124
	v_lshlrev_b64_e32 v[82:83], 1, v[82:83]
	v_cmp_u_f32_e32 vcc_lo, v124, v124
	v_and_b32_e32 v86, 0xffff0000, v86
	v_add3_u32 v155, v155, v124, 0x7fff
	v_and_b32_e32 v81, 0xffff0000, v81
	v_and_b32_e32 v80, 0xffff0000, v80
	;; [unrolled: 1-line block ×4, first 2 shown]
	s_wait_alu 0xfffd
	v_cndmask_b32_e32 v124, v155, v156, vcc_lo
	s_wait_alu 0xfffe
	v_add_co_u32 v82, vcc_lo, s4, v82
	s_wait_alu 0xfffd
	v_add_co_ci_u32_e64 v83, null, s5, v83, vcc_lo
	v_mov_b32_e32 v155, v76
	v_and_b32_e32 v77, 0xffff0000, v77
	global_store_d16_hi_b16 v[82:83], v124, off
	;;#ASMSTART
	v_fmac_f32 v155, v37, v84
	;;#ASMEND
	;;#ASMSTART
	v_fmac_f32 v155, v32, v125
	;;#ASMEND
	;; [unrolled: 3-line block ×9, first 2 shown]
	v_and_b32_e32 v84, 0xffff0000, v89
	;;#ASMSTART
	v_fmac_f32 v155, v28, v84
	;;#ASMEND
	;;#ASMSTART
	v_fmac_f32 v155, v42, v90
	;;#ASMEND
	;;#ASMSTART
	v_fmac_f32 v155, v29, v129
	;;#ASMEND
	;;#ASMSTART
	v_fmac_f32 v155, v43, v91
	;;#ASMEND
	;;#ASMSTART
	v_fmac_f32 v155, v30, v130
	;;#ASMEND
	v_and_b32_e32 v84, 0xffff0000, v92
	;;#ASMSTART
	v_fmac_f32 v155, v44, v84
	;;#ASMEND
	;;#ASMSTART
	v_fmac_f32 v155, v31, v93
	;;#ASMEND
	;;#ASMSTART
	v_fmac_f32 v155, v45, v131
	;;#ASMEND
	;;#ASMSTART
	v_fmac_f32 v155, v24, v94
	;;#ASMEND
	;;#ASMSTART
	v_fmac_f32 v155, v46, v132
	;;#ASMEND
	;; [unrolled: 16-line block ×9, first 2 shown]
	;;#ASMSTART
	v_fmac_f32 v155, v64, v81
	;;#ASMEND
	;;#ASMSTART
	v_fmac_f32 v155, v11, v116
	;;#ASMEND
	;; [unrolled: 3-line block ×21, first 2 shown]
	s_load_b32 s0, s[2:3], 0xc
	v_bfe_u32 v77, v155, 16, 1
	v_or_b32_e32 v78, 0x400000, v155
	s_delay_alu instid0(VALU_DEP_2)
	v_add3_u32 v77, v77, v155, 0x7fff
	s_wait_kmcnt 0x0
	s_and_b32 s0, s0, 0xffff
	s_wait_alu 0xfffe
	v_lshl_add_u32 v36, s0, 1, v36
	v_cmp_u_f32_e64 s0, v155, v155
	s_delay_alu instid0(VALU_DEP_2) | instskip(SKIP_1) | instid1(VALU_DEP_2)
	v_cmp_lt_u32_e32 vcc_lo, 0xe0f, v36
	s_wait_alu 0xf1ff
	v_cndmask_b32_e64 v77, v77, v78, s0
	s_or_b32 s1, vcc_lo, s1
	global_store_d16_hi_b16 v[82:83], v77, off offset:2
	s_wait_alu 0xfffe
	s_and_not1_b32 exec_lo, exec_lo, s1
	s_cbranch_execnz .LBB0_26
; %bb.27:
	s_nop 0
	s_sendmsg sendmsg(MSG_DEALLOC_VGPRS)
	s_endpgm
	.section	.rodata,"a",@progbits
	.p2align	6, 0x0
	.amdhsa_kernel miopen_conv3d_depthwise_fwd
		.amdhsa_group_segment_fixed_size 32576
		.amdhsa_private_segment_fixed_size 0
		.amdhsa_kernarg_size 320
		.amdhsa_user_sgpr_count 2
		.amdhsa_user_sgpr_dispatch_ptr 0
		.amdhsa_user_sgpr_queue_ptr 0
		.amdhsa_user_sgpr_kernarg_segment_ptr 1
		.amdhsa_user_sgpr_dispatch_id 0
		.amdhsa_user_sgpr_private_segment_size 0
		.amdhsa_wavefront_size32 1
		.amdhsa_uses_dynamic_stack 0
		.amdhsa_enable_private_segment 0
		.amdhsa_system_sgpr_workgroup_id_x 1
		.amdhsa_system_sgpr_workgroup_id_y 1
		.amdhsa_system_sgpr_workgroup_id_z 1
		.amdhsa_system_sgpr_workgroup_info 0
		.amdhsa_system_vgpr_workitem_id 0
		.amdhsa_next_free_vgpr 169
		.amdhsa_next_free_sgpr 27
		.amdhsa_reserve_vcc 1
		.amdhsa_float_round_mode_32 0
		.amdhsa_float_round_mode_16_64 0
		.amdhsa_float_denorm_mode_32 3
		.amdhsa_float_denorm_mode_16_64 3
		.amdhsa_fp16_overflow 0
		.amdhsa_workgroup_processor_mode 1
		.amdhsa_memory_ordered 1
		.amdhsa_forward_progress 1
		.amdhsa_inst_pref_size 22
		.amdhsa_round_robin_scheduling 0
		.amdhsa_exception_fp_ieee_invalid_op 0
		.amdhsa_exception_fp_denorm_src 0
		.amdhsa_exception_fp_ieee_div_zero 0
		.amdhsa_exception_fp_ieee_overflow 0
		.amdhsa_exception_fp_ieee_underflow 0
		.amdhsa_exception_fp_ieee_inexact 0
		.amdhsa_exception_int_div_zero 0
	.end_amdhsa_kernel
	.text
.Lfunc_end0:
	.size	miopen_conv3d_depthwise_fwd, .Lfunc_end0-miopen_conv3d_depthwise_fwd
                                        ; -- End function
	.set miopen_conv3d_depthwise_fwd.num_vgpr, 157
	.set miopen_conv3d_depthwise_fwd.num_agpr, 0
	.set miopen_conv3d_depthwise_fwd.numbered_sgpr, 27
	.set miopen_conv3d_depthwise_fwd.num_named_barrier, 0
	.set miopen_conv3d_depthwise_fwd.private_seg_size, 0
	.set miopen_conv3d_depthwise_fwd.uses_vcc, 1
	.set miopen_conv3d_depthwise_fwd.uses_flat_scratch, 0
	.set miopen_conv3d_depthwise_fwd.has_dyn_sized_stack, 0
	.set miopen_conv3d_depthwise_fwd.has_recursion, 0
	.set miopen_conv3d_depthwise_fwd.has_indirect_call, 0
	.section	.AMDGPU.csdata,"",@progbits
; Kernel info:
; codeLenInByte = 2732
; TotalNumSgprs: 29
; NumVgprs: 157
; ScratchSize: 0
; MemoryBound: 0
; FloatMode: 240
; IeeeMode: 1
; LDSByteSize: 32576 bytes/workgroup (compile time only)
; SGPRBlocks: 0
; VGPRBlocks: 21
; NumSGPRsForWavesPerEU: 29
; NumVGPRsForWavesPerEU: 169
; Occupancy: 8
; WaveLimiterHint : 0
; COMPUTE_PGM_RSRC2:SCRATCH_EN: 0
; COMPUTE_PGM_RSRC2:USER_SGPR: 2
; COMPUTE_PGM_RSRC2:TRAP_HANDLER: 0
; COMPUTE_PGM_RSRC2:TGID_X_EN: 1
; COMPUTE_PGM_RSRC2:TGID_Y_EN: 1
; COMPUTE_PGM_RSRC2:TGID_Z_EN: 1
; COMPUTE_PGM_RSRC2:TIDIG_COMP_CNT: 0
	.text
	.p2alignl 7, 3214868480
	.fill 96, 4, 3214868480
	.section	.AMDGPU.gpr_maximums,"",@progbits
	.set amdgpu.max_num_vgpr, 0
	.set amdgpu.max_num_agpr, 0
	.set amdgpu.max_num_sgpr, 0
	.text
	.type	__hip_cuid_500aa4d0e1267bc6,@object ; @__hip_cuid_500aa4d0e1267bc6
	.section	.bss,"aw",@nobits
	.globl	__hip_cuid_500aa4d0e1267bc6
__hip_cuid_500aa4d0e1267bc6:
	.byte	0                               ; 0x0
	.size	__hip_cuid_500aa4d0e1267bc6, 1

	.ident	"AMD clang version 22.0.0git (https://github.com/RadeonOpenCompute/llvm-project roc-7.2.4 26084 f58b06dce1f9c15707c5f808fd002e18c2accf7e)"
	.section	".note.GNU-stack","",@progbits
	.addrsig
	.addrsig_sym __hip_cuid_500aa4d0e1267bc6
	.amdgpu_metadata
---
amdhsa.kernels:
  - .args:
      - .address_space:  global
        .offset:         0
        .size:           8
        .value_kind:     global_buffer
      - .actual_access:  write_only
        .address_space:  global
        .offset:         8
        .size:           8
        .value_kind:     global_buffer
      - .actual_access:  read_only
        .address_space:  global
        .offset:         16
        .size:           8
        .value_kind:     global_buffer
      - .actual_access:  read_only
        .address_space:  global
        .offset:         24
        .size:           8
        .value_kind:     global_buffer
      - .offset:         32
        .size:           4
        .value_kind:     by_value
      - .offset:         36
        .size:           4
        .value_kind:     by_value
      - .offset:         40
        .size:           4
        .value_kind:     by_value
      - .offset:         44
        .size:           4
        .value_kind:     by_value
      - .offset:         48
        .size:           4
        .value_kind:     by_value
      - .offset:         52
        .size:           4
        .value_kind:     by_value
      - .offset:         56
        .size:           4
        .value_kind:     by_value
      - .offset:         60
        .size:           4
        .value_kind:     by_value
      - .offset:         64
        .size:           4
        .value_kind:     hidden_block_count_x
      - .offset:         68
        .size:           4
        .value_kind:     hidden_block_count_y
      - .offset:         72
        .size:           4
        .value_kind:     hidden_block_count_z
      - .offset:         76
        .size:           2
        .value_kind:     hidden_group_size_x
      - .offset:         78
        .size:           2
        .value_kind:     hidden_group_size_y
      - .offset:         80
        .size:           2
        .value_kind:     hidden_group_size_z
      - .offset:         82
        .size:           2
        .value_kind:     hidden_remainder_x
      - .offset:         84
        .size:           2
        .value_kind:     hidden_remainder_y
      - .offset:         86
        .size:           2
        .value_kind:     hidden_remainder_z
      - .offset:         104
        .size:           8
        .value_kind:     hidden_global_offset_x
      - .offset:         112
        .size:           8
        .value_kind:     hidden_global_offset_y
      - .offset:         120
        .size:           8
        .value_kind:     hidden_global_offset_z
      - .offset:         128
        .size:           2
        .value_kind:     hidden_grid_dims
    .group_segment_fixed_size: 32576
    .kernarg_segment_align: 8
    .kernarg_segment_size: 320
    .language:       OpenCL C
    .language_version:
      - 2
      - 0
    .max_flat_workgroup_size: 256
    .name:           miopen_conv3d_depthwise_fwd
    .private_segment_fixed_size: 0
    .sgpr_count:     29
    .sgpr_spill_count: 0
    .symbol:         miopen_conv3d_depthwise_fwd.kd
    .uniform_work_group_size: 1
    .uses_dynamic_stack: false
    .vgpr_count:     157
    .vgpr_spill_count: 0
    .wavefront_size: 32
    .workgroup_processor_mode: 1
amdhsa.target:   amdgcn-amd-amdhsa--gfx1201
amdhsa.version:
  - 1
  - 2
...

	.end_amdgpu_metadata
